;; amdgpu-corpus repo=zjin-lcf/HeCBench kind=compiled arch=gfx906 opt=O3
	.amdgcn_target "amdgcn-amd-amdhsa--gfx906"
	.amdhsa_code_object_version 6
	.text
	.protected	_Z22target_inner_3d_kernelxxxiiixxxxxxxxxffffffffffffffffPKfPfS0_S0_S0_ ; -- Begin function _Z22target_inner_3d_kernelxxxiiixxxxxxxxxffffffffffffffffPKfPfS0_S0_S0_
	.globl	_Z22target_inner_3d_kernelxxxiiixxxxxxxxxffffffffffffffffPKfPfS0_S0_S0_
	.p2align	8
	.type	_Z22target_inner_3d_kernelxxxiiixxxxxxxxxffffffffffffffffPKfPfS0_S0_S0_,@function
_Z22target_inner_3d_kernelxxxiiixxxxxxxxxffffffffffffffffPKfPfS0_S0_S0_: ; @_Z22target_inner_3d_kernelxxxiiixxxxxxxxxffffffffffffffffPKfPfS0_S0_S0_
; %bb.0:
	s_load_dwordx2 s[28:29], s[4:5], 0xe4
	s_load_dwordx2 s[0:1], s[4:5], 0xb0
	v_lshlrev_b32_e32 v11, 10, v2
	v_lshl_add_u32 v10, v1, 6, v11
	v_or3_b32 v4, v2, v1, v0
	s_waitcnt lgkmcnt(0)
	s_and_b32 s29, s29, 0xffff
	v_lshl_add_u32 v9, v0, 2, v10
	v_mov_b32_e32 v3, 0
	v_cmp_gt_u32_e32 vcc, 8, v4
	ds_write_b32 v9, v3
	s_and_saveexec_b64 s[2:3], vcc
; %bb.1:
	ds_write_b32 v9, v3 offset:8736
; %bb.2:
	s_or_b64 exec, exec, s[2:3]
	s_load_dwordx2 s[2:3], s[4:5], 0x1c
	s_load_dwordx16 s[12:27], s[4:5], 0x28
	s_load_dwordx2 s[10:11], s[4:5], 0x68
	s_lshr_b32 s9, s28, 16
	s_and_b32 s29, s29, 0xffff
	s_mul_i32 s8, s8, s29
	s_mul_i32 s7, s7, s9
	s_and_b32 s9, s28, 0xffff
	s_waitcnt lgkmcnt(0)
	s_add_u32 s8, s8, s12
	s_mul_i32 s6, s6, s9
	s_addc_u32 s9, 0, s13
	v_mov_b32_e32 v4, s9
	v_add_co_u32_e32 v3, vcc, s8, v2
	s_add_u32 s7, s7, s16
	v_addc_co_u32_e32 v4, vcc, 0, v4, vcc
	s_addc_u32 s8, 0, s17
	v_mov_b32_e32 v6, s8
	v_add_co_u32_e32 v5, vcc, s7, v1
	v_addc_co_u32_e32 v6, vcc, 0, v6, vcc
	v_lshlrev_b32_e32 v2, 1, v2
	v_and_b32_e32 v2, 0x7f8, v2
	v_mov_b32_e32 v12, s25
	v_add_co_u32_e32 v16, vcc, s24, v3
	v_add_u32_e32 v7, -4, v2
	v_addc_co_u32_e32 v17, vcc, v4, v12, vcc
	v_ashrrev_i32_e32 v8, 31, v7
	v_add_co_u32_e32 v12, vcc, v16, v7
	v_addc_co_u32_e32 v14, vcc, v17, v8, vcc
	s_add_u32 s8, s6, s20
	v_mov_b32_e32 v8, s27
	v_add_co_u32_e32 v7, vcc, s26, v5
	s_addc_u32 s6, 0, s21
	s_ashr_i32 s9, s2, 31
	v_addc_co_u32_e32 v8, vcc, v6, v8, vcc
	v_mov_b32_e32 v13, s6
	v_mul_lo_u32 v15, v12, s9
	v_mul_lo_u32 v14, v14, s2
	v_mad_u64_u32 v[7:8], s[6:7], v12, s2, v[7:8]
	s_ashr_i32 s12, s3, 31
	v_add_co_u32_e32 v12, vcc, s8, v0
	v_add3_u32 v8, v14, v8, v15
	v_mul_lo_u32 v14, v8, s3
	v_mul_lo_u32 v15, v7, s12
	v_mad_u64_u32 v[7:8], s[6:7], v7, s3, 0
	v_addc_co_u32_e32 v13, vcc, 0, v13, vcc
	v_add3_u32 v8, v8, v15, v14
	v_lshlrev_b64 v[7:8], 2, v[7:8]
	v_mov_b32_e32 v14, s1
	v_add_co_u32_e32 v18, vcc, s0, v7
	v_addc_co_u32_e32 v19, vcc, v14, v8, vcc
	v_mad_u64_u32 v[14:15], s[6:7], v16, s2, v[5:6]
	v_mul_lo_u32 v16, v16, s9
	v_mul_lo_u32 v17, v17, s2
	v_lshlrev_b64 v[7:8], 2, v[12:13]
	s_lshl_b64 s[6:7], s[10:11], 2
	v_add_co_u32_e32 v18, vcc, v18, v7
	v_add3_u32 v21, v17, v15, v16
	v_lshlrev_b32_e32 v15, 1, v1
	v_and_b32_e32 v22, 0x7f8, v15
	v_addc_co_u32_e32 v19, vcc, v19, v8, vcc
	v_add_u32_e32 v15, -4, v22
	v_ashrrev_i32_e32 v16, 31, v15
	v_mov_b32_e32 v17, s27
	v_add_co_u32_e32 v15, vcc, s26, v15
	v_addc_co_u32_e32 v16, vcc, v17, v16, vcc
	v_add_co_u32_e32 v15, vcc, v15, v14
	v_addc_co_u32_e32 v16, vcc, v16, v21, vcc
	v_mul_lo_u32 v23, v16, s3
	v_mul_lo_u32 v24, v15, s12
	v_mad_u64_u32 v[15:16], s[8:9], v15, s3, 0
	v_mov_b32_e32 v20, s7
	v_add_co_u32_e32 v17, vcc, s6, v18
	v_add3_u32 v16, v16, v24, v23
	v_lshlrev_b64 v[15:16], 2, v[15:16]
	v_addc_co_u32_e32 v18, vcc, v19, v20, vcc
	s_barrier
	global_load_dword v18, v[17:18], off
	v_mov_b32_e32 v17, s1
	v_add_co_u32_e32 v15, vcc, s0, v15
	v_addc_co_u32_e32 v16, vcc, v17, v16, vcc
	v_add_co_u32_e32 v15, vcc, v15, v7
	v_addc_co_u32_e32 v16, vcc, v16, v8, vcc
	v_mov_b32_e32 v7, s27
	v_add_co_u32_e32 v8, vcc, s26, v14
	v_addc_co_u32_e32 v7, vcc, v21, v7, vcc
	v_mul_lo_u32 v17, v8, s12
	v_mul_lo_u32 v19, v7, s3
	v_mad_u64_u32 v[7:8], s[2:3], v8, s3, v[12:13]
	v_add_co_u32_e32 v14, vcc, s6, v15
	v_add3_u32 v8, v19, v8, v17
	v_addc_co_u32_e32 v15, vcc, v16, v20, vcc
	v_lshlrev_b64 v[16:17], 2, v[7:8]
	v_mov_b32_e32 v19, s1
	v_add_co_u32_e32 v16, vcc, s0, v16
	v_addc_co_u32_e32 v17, vcc, v19, v17, vcc
	v_add_co_u32_e32 v16, vcc, s6, v16
	v_addc_co_u32_e32 v17, vcc, v17, v20, vcc
	global_load_dword v19, v[14:15], off
	global_load_dword v20, v[16:17], off offset:-16
	global_load_dword v21, v[16:17], off offset:16
	v_lshl_add_u32 v2, v2, 10, v11
	v_lshlrev_b32_e32 v1, 6, v1
	v_lshlrev_b32_e32 v0, 2, v0
	v_add3_u32 v1, v2, v1, v0
	v_cmp_gt_i64_e32 vcc, s[14:15], v[3:4]
	v_cmp_gt_i64_e64 s[0:1], s[18:19], v[5:6]
	v_cmp_gt_i64_e64 s[2:3], s[22:23], v[12:13]
	s_and_b64 s[0:1], vcc, s[0:1]
	s_and_b64 s[0:1], s[0:1], s[2:3]
	s_waitcnt vmcnt(3)
	ds_write_b32 v1, v18 offset:272
	v_lshlrev_b32_e32 v1, 6, v22
	v_add3_u32 v0, v10, v1, v0
	s_waitcnt vmcnt(2)
	ds_write_b32 v0, v19 offset:4112
	v_add_u32_e32 v0, 0x1000, v9
	s_waitcnt vmcnt(0)
	ds_write2_b32 v0, v20, v21 offset0:64 offset1:72
	s_waitcnt lgkmcnt(0)
	s_barrier
	s_and_saveexec_b64 s[2:3], s[0:1]
	s_cbranch_execz .LBB0_4
; %bb.3:
	s_load_dwordx4 s[0:3], s[4:5], 0xb8
	v_mov_b32_e32 v2, s11
	v_add_co_u32_e32 v1, vcc, s10, v7
	v_addc_co_u32_e32 v2, vcc, v8, v2, vcc
	v_lshlrev_b64 v[1:2], 2, v[1:2]
	s_waitcnt lgkmcnt(0)
	v_mov_b32_e32 v4, s3
	v_add_co_u32_e32 v3, vcc, s2, v1
	v_addc_co_u32_e32 v4, vcc, v4, v2, vcc
	global_load_dword v24, v[3:4], off
	v_mov_b32_e32 v3, s1
	v_add_co_u32_e32 v1, vcc, s0, v1
	v_addc_co_u32_e32 v2, vcc, v3, v2, vcc
	global_load_dword v25, v[1:2], off
	v_add_u32_e32 v26, 16, v9
	ds_read2st64_b32 v[3:4], v26 offset0:18 offset1:21
	ds_read2st64_b32 v[5:6], v26 offset0:9 offset1:13
	s_load_dwordx8 s[8:15], s[4:5], 0x7c
	v_add_u32_e32 v7, 0x1110, v9
	s_load_dwordx4 s[0:3], s[4:5], 0x9c
	s_load_dword s6, s[4:5], 0xac
	ds_read2_b32 v[7:8], v7 offset1:1
	s_waitcnt lgkmcnt(0)
	v_add_f32_e32 v4, v4, v6
	ds_read2_b32 v[10:11], v0 offset0:72 offset1:84
	ds_read2_b32 v[12:13], v0 offset0:36 offset1:52
	v_mul_f32_e32 v6, s9, v4
	v_add_u32_e32 v4, 0x1108, v9
	v_add_u32_e32 v16, 0x1118, v9
	;; [unrolled: 1-line block ×3, first 2 shown]
	ds_read2_b32 v[14:15], v4 offset1:1
	ds_read2_b32 v[16:17], v16 offset1:1
	;; [unrolled: 1-line block ×3, first 2 shown]
	ds_read2st64_b32 v[20:21], v26 offset0:25 offset1:29
	v_fmac_f32_e32 v6, s8, v7
	s_waitcnt lgkmcnt(4)
	v_add_f32_e32 v4, v11, v13
	v_fmac_f32_e32 v6, s13, v4
	s_waitcnt lgkmcnt(3)
	v_add_f32_e32 v4, v8, v15
	ds_read2_b32 v[22:23], v0 offset0:100 offset1:116
	v_fmac_f32_e32 v6, s1, v4
	s_waitcnt lgkmcnt(1)
	v_add_f32_e32 v4, v20, v5
	v_fmac_f32_e32 v6, s10, v4
	ds_read2st64_b32 v[4:5], v26 offset0:1 offset1:5
	s_waitcnt lgkmcnt(1)
	v_add_f32_e32 v8, v22, v12
	v_fmac_f32_e32 v6, s14, v8
	v_add_f32_e32 v8, v16, v14
	ds_read2_b32 v[11:12], v0 offset0:4 offset1:20
	v_fmac_f32_e32 v6, s2, v8
	s_waitcnt lgkmcnt(1)
	v_add_f32_e32 v0, v21, v5
	v_fmac_f32_e32 v6, s11, v0
	ds_read_b32 v0, v9 offset:8464
	s_waitcnt lgkmcnt(1)
	v_add_f32_e32 v5, v23, v12
	v_fmac_f32_e32 v6, s15, v5
	v_add_f32_e32 v5, v17, v19
	v_fmac_f32_e32 v6, s3, v5
	s_waitcnt lgkmcnt(0)
	v_add_f32_e32 v0, v0, v4
	v_fmac_f32_e32 v6, s12, v0
	v_add_f32_e32 v0, v3, v11
	v_fmac_f32_e32 v6, s0, v0
	;; [unrolled: 2-line block ×3, first 2 shown]
	s_waitcnt vmcnt(1)
	v_mul_f32_e32 v0, v24, v6
	v_fmac_f32_e32 v0, 2.0, v7
	s_waitcnt vmcnt(0)
	v_sub_f32_e32 v0, v0, v25
	global_store_dword v[1:2], v0, off
.LBB0_4:
	s_endpgm
	.section	.rodata,"a",@progbits
	.p2align	6, 0x0
	.amdhsa_kernel _Z22target_inner_3d_kernelxxxiiixxxxxxxxxffffffffffffffffPKfPfS0_S0_S0_
		.amdhsa_group_segment_fixed_size 16384
		.amdhsa_private_segment_fixed_size 0
		.amdhsa_kernarg_size 472
		.amdhsa_user_sgpr_count 6
		.amdhsa_user_sgpr_private_segment_buffer 1
		.amdhsa_user_sgpr_dispatch_ptr 0
		.amdhsa_user_sgpr_queue_ptr 0
		.amdhsa_user_sgpr_kernarg_segment_ptr 1
		.amdhsa_user_sgpr_dispatch_id 0
		.amdhsa_user_sgpr_flat_scratch_init 0
		.amdhsa_user_sgpr_private_segment_size 0
		.amdhsa_uses_dynamic_stack 0
		.amdhsa_system_sgpr_private_segment_wavefront_offset 0
		.amdhsa_system_sgpr_workgroup_id_x 1
		.amdhsa_system_sgpr_workgroup_id_y 1
		.amdhsa_system_sgpr_workgroup_id_z 1
		.amdhsa_system_sgpr_workgroup_info 0
		.amdhsa_system_vgpr_workitem_id 2
		.amdhsa_next_free_vgpr 29
		.amdhsa_next_free_sgpr 61
		.amdhsa_reserve_vcc 1
		.amdhsa_reserve_flat_scratch 0
		.amdhsa_float_round_mode_32 0
		.amdhsa_float_round_mode_16_64 0
		.amdhsa_float_denorm_mode_32 3
		.amdhsa_float_denorm_mode_16_64 3
		.amdhsa_dx10_clamp 1
		.amdhsa_ieee_mode 1
		.amdhsa_fp16_overflow 0
		.amdhsa_exception_fp_ieee_invalid_op 0
		.amdhsa_exception_fp_denorm_src 0
		.amdhsa_exception_fp_ieee_div_zero 0
		.amdhsa_exception_fp_ieee_overflow 0
		.amdhsa_exception_fp_ieee_underflow 0
		.amdhsa_exception_fp_ieee_inexact 0
		.amdhsa_exception_int_div_zero 0
	.end_amdhsa_kernel
	.text
.Lfunc_end0:
	.size	_Z22target_inner_3d_kernelxxxiiixxxxxxxxxffffffffffffffffPKfPfS0_S0_S0_, .Lfunc_end0-_Z22target_inner_3d_kernelxxxiiixxxxxxxxxffffffffffffffffPKfPfS0_S0_S0_
                                        ; -- End function
	.set _Z22target_inner_3d_kernelxxxiiixxxxxxxxxffffffffffffffffPKfPfS0_S0_S0_.num_vgpr, 27
	.set _Z22target_inner_3d_kernelxxxiiixxxxxxxxxffffffffffffffffPKfPfS0_S0_S0_.num_agpr, 0
	.set _Z22target_inner_3d_kernelxxxiiixxxxxxxxxffffffffffffffffPKfPfS0_S0_S0_.numbered_sgpr, 30
	.set _Z22target_inner_3d_kernelxxxiiixxxxxxxxxffffffffffffffffPKfPfS0_S0_S0_.num_named_barrier, 0
	.set _Z22target_inner_3d_kernelxxxiiixxxxxxxxxffffffffffffffffPKfPfS0_S0_S0_.private_seg_size, 0
	.set _Z22target_inner_3d_kernelxxxiiixxxxxxxxxffffffffffffffffPKfPfS0_S0_S0_.uses_vcc, 1
	.set _Z22target_inner_3d_kernelxxxiiixxxxxxxxxffffffffffffffffPKfPfS0_S0_S0_.uses_flat_scratch, 0
	.set _Z22target_inner_3d_kernelxxxiiixxxxxxxxxffffffffffffffffPKfPfS0_S0_S0_.has_dyn_sized_stack, 0
	.set _Z22target_inner_3d_kernelxxxiiixxxxxxxxxffffffffffffffffPKfPfS0_S0_S0_.has_recursion, 0
	.set _Z22target_inner_3d_kernelxxxiiixxxxxxxxxffffffffffffffffPKfPfS0_S0_S0_.has_indirect_call, 0
	.section	.AMDGPU.csdata,"",@progbits
; Kernel info:
; codeLenInByte = 1156
; TotalNumSgprs: 34
; NumVgprs: 27
; ScratchSize: 0
; MemoryBound: 0
; FloatMode: 240
; IeeeMode: 1
; LDSByteSize: 16384 bytes/workgroup (compile time only)
; SGPRBlocks: 8
; VGPRBlocks: 7
; NumSGPRsForWavesPerEU: 65
; NumVGPRsForWavesPerEU: 29
; Occupancy: 8
; WaveLimiterHint : 0
; COMPUTE_PGM_RSRC2:SCRATCH_EN: 0
; COMPUTE_PGM_RSRC2:USER_SGPR: 6
; COMPUTE_PGM_RSRC2:TRAP_HANDLER: 0
; COMPUTE_PGM_RSRC2:TGID_X_EN: 1
; COMPUTE_PGM_RSRC2:TGID_Y_EN: 1
; COMPUTE_PGM_RSRC2:TGID_Z_EN: 1
; COMPUTE_PGM_RSRC2:TIDIG_COMP_CNT: 2
	.text
	.protected	_Z20target_pml_3d_kernelxxxiiixxxxxxxxxffffffffffffffffPKfPfS0_S1_S0_ ; -- Begin function _Z20target_pml_3d_kernelxxxiiixxxxxxxxxffffffffffffffffPKfPfS0_S1_S0_
	.globl	_Z20target_pml_3d_kernelxxxiiixxxxxxxxxffffffffffffffffPKfPfS0_S1_S0_
	.p2align	8
	.type	_Z20target_pml_3d_kernelxxxiiixxxxxxxxxffffffffffffffffPKfPfS0_S1_S0_,@function
_Z20target_pml_3d_kernelxxxiiixxxxxxxxxffffffffffffffffPKfPfS0_S1_S0_: ; @_Z20target_pml_3d_kernelxxxiiixxxxxxxxxffffffffffffffffPKfPfS0_S1_S0_
; %bb.0:
	s_load_dwordx2 s[2:3], s[4:5], 0xe4
	s_load_dwordx2 s[0:1], s[4:5], 0xb0
	v_lshlrev_b32_e32 v14, 10, v2
	v_lshl_add_u32 v13, v1, 6, v14
	v_or3_b32 v4, v2, v1, v0
	s_waitcnt lgkmcnt(0)
	s_and_b32 s3, s3, 0xffff
	v_lshl_add_u32 v15, v0, 2, v13
	v_mov_b32_e32 v3, 0
	v_cmp_gt_u32_e32 vcc, 8, v4
	ds_write_b32 v15, v3
	s_and_saveexec_b64 s[10:11], vcc
; %bb.1:
	ds_write_b32 v15, v3 offset:8736
; %bb.2:
	s_or_b64 exec, exec, s[10:11]
	s_load_dwordx2 s[10:11], s[4:5], 0x1c
	s_load_dwordx16 s[12:27], s[4:5], 0x28
	s_load_dwordx2 s[36:37], s[4:5], 0x68
	s_and_b32 s3, s3, 0xffff
	s_lshr_b32 s9, s2, 16
	s_mul_i32 s8, s8, s3
	s_and_b32 s2, s2, 0xffff
	s_mul_i32 s6, s6, s2
	s_waitcnt lgkmcnt(0)
	s_add_u32 s2, s8, s12
	s_mul_i32 s7, s7, s9
	s_addc_u32 s3, 0, s13
	v_add_co_u32_e32 v7, vcc, s2, v2
	v_mov_b32_e32 v3, s3
	s_add_u32 s2, s7, s16
	v_addc_co_u32_e32 v8, vcc, 0, v3, vcc
	s_addc_u32 s3, 0, s17
	v_add_co_u32_e32 v9, vcc, s2, v1
	v_mov_b32_e32 v3, s3
	s_add_u32 s2, s6, s20
	v_addc_co_u32_e32 v10, vcc, 0, v3, vcc
	s_addc_u32 s3, 0, s21
	v_add_co_u32_e32 v11, vcc, s2, v0
	v_mov_b32_e32 v3, s3
	v_addc_co_u32_e32 v12, vcc, 0, v3, vcc
	v_lshlrev_b32_e32 v2, 1, v2
	v_and_b32_e32 v18, 0x7f8, v2
	v_add_co_u32_e32 v22, vcc, s24, v7
	v_mov_b32_e32 v4, s25
	v_add_u32_e32 v2, -4, v18
	v_addc_co_u32_e32 v23, vcc, v8, v4, vcc
	v_ashrrev_i32_e32 v3, 31, v2
	v_add_co_u32_e32 v2, vcc, v22, v2
	v_addc_co_u32_e32 v3, vcc, v23, v3, vcc
	v_add_co_u32_e32 v5, vcc, s26, v9
	v_mov_b32_e32 v4, s27
	s_ashr_i32 s35, s10, 31
	v_addc_co_u32_e32 v6, vcc, v10, v4, vcc
	v_mul_lo_u32 v4, v2, s35
	v_mul_lo_u32 v16, v3, s10
	v_mad_u64_u32 v[2:3], s[2:3], v2, s10, v[5:6]
	s_ashr_i32 s7, s11, 31
	v_add3_u32 v3, v16, v3, v4
	v_mul_lo_u32 v4, v3, s11
	v_mul_lo_u32 v16, v2, s7
	v_mad_u64_u32 v[2:3], s[2:3], v2, s11, 0
	s_lshl_b64 s[2:3], s[36:37], 2
	s_barrier
	v_add3_u32 v3, v3, v16, v4
	v_lshlrev_b64 v[2:3], 2, v[2:3]
	v_mov_b32_e32 v4, s1
	v_add_co_u32_e32 v2, vcc, s0, v2
	v_addc_co_u32_e32 v16, vcc, v4, v3, vcc
	v_lshlrev_b64 v[3:4], 2, v[11:12]
	v_add_co_u32_e32 v2, vcc, v2, v3
	v_addc_co_u32_e32 v17, vcc, v16, v4, vcc
	v_add_co_u32_e32 v16, vcc, s2, v2
	v_mov_b32_e32 v2, s3
	v_addc_co_u32_e32 v17, vcc, v17, v2, vcc
	global_load_dword v16, v[16:17], off
	v_lshl_add_u32 v14, v18, 10, v14
	v_lshlrev_b32_e32 v17, 6, v1
	v_lshlrev_b32_e32 v18, 2, v0
	v_add3_u32 v0, v14, v17, v18
	v_mul_lo_u32 v14, v23, s10
	v_mov_b32_e32 v19, s27
	s_waitcnt vmcnt(0)
	ds_write_b32 v0, v16 offset:272
	v_mad_u64_u32 v[16:17], s[8:9], v22, s10, v[9:10]
	v_mul_lo_u32 v0, v22, s35
	v_add3_u32 v14, v14, v17, v0
	v_lshlrev_b32_e32 v0, 1, v1
	v_and_b32_e32 v17, 0x7f8, v0
	v_add_u32_e32 v0, -4, v17
	v_ashrrev_i32_e32 v1, 31, v0
	v_add_co_u32_e32 v0, vcc, s26, v0
	v_addc_co_u32_e32 v1, vcc, v19, v1, vcc
	v_add_co_u32_e32 v0, vcc, v0, v16
	v_addc_co_u32_e32 v1, vcc, v1, v14, vcc
	v_mul_lo_u32 v19, v1, s11
	v_mul_lo_u32 v20, v0, s7
	v_mad_u64_u32 v[0:1], s[8:9], v0, s11, 0
	v_add3_u32 v1, v1, v20, v19
	v_lshlrev_b64 v[0:1], 2, v[0:1]
	v_mov_b32_e32 v19, s1
	v_add_co_u32_e32 v0, vcc, s0, v0
	v_addc_co_u32_e32 v1, vcc, v19, v1, vcc
	v_add_co_u32_e32 v0, vcc, v0, v3
	v_addc_co_u32_e32 v1, vcc, v1, v4, vcc
	;; [unrolled: 2-line block ×3, first 2 shown]
	global_load_dword v0, v[0:1], off
	v_lshlrev_b32_e32 v1, 6, v17
	v_add3_u32 v1, v13, v1, v18
	v_add_co_u32_e32 v24, vcc, s26, v16
	v_mad_u64_u32 v[20:21], s[8:9], v24, s11, v[11:12]
	s_waitcnt vmcnt(0)
	ds_write_b32 v1, v0 offset:4112
	v_mov_b32_e32 v0, s27
	v_addc_co_u32_e32 v25, vcc, v14, v0, vcc
	v_mul_lo_u32 v0, v24, s7
	v_mul_lo_u32 v1, v25, s11
	v_mov_b32_e32 v14, s1
	v_add3_u32 v21, v1, v21, v0
	v_lshlrev_b64 v[0:1], 2, v[20:21]
	v_add_co_u32_e32 v13, vcc, s0, v0
	v_addc_co_u32_e32 v14, vcc, v14, v1, vcc
	v_add_co_u32_e32 v13, vcc, s2, v13
	v_addc_co_u32_e32 v14, vcc, v14, v2, vcc
	global_load_dword v16, v[13:14], off offset:-16
	global_load_dword v17, v[13:14], off offset:16
	v_cmp_gt_i64_e32 vcc, s[14:15], v[7:8]
	v_cmp_gt_i64_e64 s[0:1], s[18:19], v[9:10]
	v_add_u32_e32 v2, 0x1000, v15
	s_and_b64 s[0:1], vcc, s[0:1]
	v_cmp_gt_i64_e32 vcc, s[22:23], v[11:12]
	s_and_b64 s[0:1], s[0:1], vcc
	s_waitcnt vmcnt(0)
	ds_write2_b32 v2, v16, v17 offset0:64 offset1:72
	s_waitcnt lgkmcnt(0)
	s_barrier
	s_and_saveexec_b64 s[8:9], s[0:1]
	s_cbranch_execz .LBB1_4
; %bb.3:
	v_add_u32_e32 v7, 0x1110, v15
	v_add_u32_e32 v33, 16, v15
	s_mov_b32 s34, s10
	s_mov_b32 s6, s11
	s_load_dwordx8 s[24:31], s[4:5], 0xb8
	s_load_dwordx16 s[8:23], s[4:5], 0x70
	ds_read2_b32 v[7:8], v7 offset1:1
	ds_read2st64_b32 v[16:17], v33 offset0:18 offset1:21
	ds_read2st64_b32 v[18:19], v33 offset0:9 offset1:13
	ds_read2_b32 v[11:12], v2 offset0:72 offset1:84
	ds_read2_b32 v[13:14], v2 offset0:36 offset1:52
	;; [unrolled: 1-line block ×3, first 2 shown]
	s_waitcnt lgkmcnt(0)
	v_add_f32_e32 v9, v17, v19
	v_mul_f32_e32 v26, s12, v9
	v_fmac_f32_e32 v26, s11, v7
	v_add_f32_e32 v9, v12, v14
	v_fmac_f32_e32 v26, s16, v9
	v_add_u32_e32 v9, 0x1108, v15
	ds_read2_b32 v[9:10], v9 offset1:1
	v_add_f32_e32 v13, v29, v13
	s_waitcnt lgkmcnt(0)
	v_add_f32_e32 v27, v8, v10
	v_fmac_f32_e32 v26, s20, v27
	ds_read2st64_b32 v[27:28], v33 offset0:25 offset1:29
	ds_read2st64_b32 v[33:34], v33 offset0:1 offset1:5
	s_waitcnt lgkmcnt(1)
	v_add_f32_e32 v18, v27, v18
	v_fmac_f32_e32 v26, s13, v18
	v_fmac_f32_e32 v26, s17, v13
	v_add_u32_e32 v13, 0x1118, v15
	ds_read2_b32 v[31:32], v13 offset1:1
	s_waitcnt lgkmcnt(0)
	v_add_f32_e32 v9, v31, v9
	v_fmac_f32_e32 v26, s21, v9
	v_add_f32_e32 v9, v28, v34
	ds_read2_b32 v[27:28], v2 offset0:4 offset1:20
	v_fmac_f32_e32 v26, s14, v9
	s_waitcnt lgkmcnt(0)
	v_add_f32_e32 v2, v30, v28
	v_fmac_f32_e32 v26, s18, v2
	v_add_u32_e32 v2, 0x1100, v15
	ds_read2_b32 v[28:29], v2 offset1:1
	s_waitcnt lgkmcnt(0)
	v_add_f32_e32 v2, v32, v29
	v_fmac_f32_e32 v26, s22, v2
	ds_read_b32 v2, v15 offset:8464
	v_add_co_u32_e32 v15, vcc, s36, v20
	s_waitcnt lgkmcnt(0)
	v_add_f32_e32 v2, v2, v33
	v_fmac_f32_e32 v26, s15, v2
	v_add_f32_e32 v2, v16, v27
	v_fmac_f32_e32 v26, s19, v2
	;; [unrolled: 2-line block ×3, first 2 shown]
	v_mov_b32_e32 v2, s37
	v_addc_co_u32_e32 v16, vcc, v21, v2, vcc
	v_add_co_u32_e32 v0, vcc, s30, v0
	v_mov_b32_e32 v2, s31
	v_addc_co_u32_e32 v1, vcc, v2, v1, vcc
	v_add_co_u32_e32 v0, vcc, s2, v0
	v_mov_b32_e32 v11, s3
	v_addc_co_u32_e32 v1, vcc, v1, v11, vcc
	global_load_dwordx3 v[0:2], v[0:1], off offset:-4
	v_lshlrev_b64 v[20:21], 2, v[15:16]
	v_mov_b32_e32 v27, s25
	v_add_co_u32_e32 v15, vcc, s26, v20
	s_waitcnt vmcnt(0)
	v_fma_f32 v9, v1, 2.0, 2.0
	v_fma_f32 v13, -v1, v1, v9
	v_mov_b32_e32 v9, s27
	v_addc_co_u32_e32 v16, vcc, v9, v21, vcc
	global_load_dword v18, v[15:16], off
	v_add_co_u32_e32 v15, vcc, s28, v20
	v_mov_b32_e32 v9, s29
	v_addc_co_u32_e32 v16, vcc, v9, v21, vcc
	v_add_co_u32_e32 v20, vcc, s24, v20
	global_load_dword v9, v[15:16], off
	v_addc_co_u32_e32 v21, vcc, v27, v21, vcc
	global_load_dword v27, v[20:21], off
	v_sub_f32_e32 v0, v2, v0
	v_sub_f32_e32 v2, v8, v10
	v_mul_f32_e32 v0, v2, v0
	s_waitcnt vmcnt(1)
	v_add_f32_e32 v26, v26, v9
	s_waitcnt vmcnt(0)
	v_fma_f32 v18, v18, v26, -v27
	v_fmac_f32_e32 v18, v7, v13
	v_fma_f32 v7, v1, 2.0, 1.0
	v_div_scale_f32 v13, s[0:1], v7, v7, v18
	v_add_f32_e32 v1, 1.0, v1
	v_rcp_f32_e32 v26, v13
	v_fma_f32 v27, -v13, v26, 1.0
	v_fmac_f32_e32 v26, v27, v26
	v_div_scale_f32 v27, vcc, v18, v7, v18
	v_mul_f32_e32 v28, v27, v26
	v_fma_f32 v29, -v13, v28, v27
	v_fmac_f32_e32 v28, v29, v26
	v_fma_f32 v13, -v13, v28, v27
	v_div_fmas_f32 v13, v13, v26, v28
	v_div_fixup_f32 v7, v13, v7, v18
	global_store_dword v[20:21], v7, off
	v_mov_b32_e32 v20, s34
	v_mov_b32_e32 v21, s35
	v_mad_u64_u32 v[20:21], s[0:1], s34, v22, v[20:21]
	v_mul_lo_u32 v7, s34, v23
	v_mul_lo_u32 v13, s35, v22
	v_add3_u32 v7, v13, v21, v7
	v_add_co_u32_e32 v13, vcc, v5, v20
	v_addc_co_u32_e32 v18, vcc, v6, v7, vcc
	v_mul_lo_u32 v18, v18, s6
	v_mul_lo_u32 v23, v13, s7
	v_mad_u64_u32 v[21:22], s[0:1], v13, s6, 0
	s_lshl_b64 s[0:1], s[34:35], 1
	v_add3_u32 v22, v22, v23, v18
	v_lshlrev_b64 v[21:22], 2, v[21:22]
	v_mov_b32_e32 v18, s31
	v_add_co_u32_e32 v13, vcc, s30, v21
	v_addc_co_u32_e32 v18, vcc, v18, v22, vcc
	v_add_co_u32_e32 v13, vcc, v13, v3
	v_addc_co_u32_e32 v18, vcc, v18, v4, vcc
	;; [unrolled: 2-line block ×3, first 2 shown]
	v_subrev_co_u32_e32 v18, vcc, s0, v20
	v_mov_b32_e32 v20, s1
	v_subb_co_u32_e32 v7, vcc, v7, v20, vcc
	v_add_co_u32_e32 v5, vcc, v5, v18
	v_addc_co_u32_e32 v6, vcc, v6, v7, vcc
	v_mul_lo_u32 v7, v6, s6
	v_mul_lo_u32 v18, v5, s7
	v_mad_u64_u32 v[5:6], s[0:1], v5, s6, 0
	global_load_dword v13, v[21:22], off
	v_add3_u32 v6, v6, v18, v7
	v_lshlrev_b64 v[5:6], 2, v[5:6]
	v_mov_b32_e32 v7, s31
	v_add_co_u32_e32 v5, vcc, s30, v5
	v_addc_co_u32_e32 v6, vcc, v7, v6, vcc
	v_add_co_u32_e32 v5, vcc, v5, v3
	v_addc_co_u32_e32 v6, vcc, v6, v4, vcc
	;; [unrolled: 2-line block ×3, first 2 shown]
	global_load_dword v5, v[5:6], off
	v_sub_f32_e32 v6, v17, v19
	v_mul_lo_u32 v17, s7, v24
	s_waitcnt vmcnt(0)
	v_sub_f32_e32 v5, v13, v5
	v_mul_f32_e32 v5, v6, v5
	v_mov_b32_e32 v6, s6
	v_mov_b32_e32 v7, s7
	v_mad_u64_u32 v[6:7], s[0:1], s6, v24, v[6:7]
	v_mul_lo_u32 v13, s6, v25
	v_add3_u32 v7, v17, v7, v13
	v_lshlrev_b64 v[6:7], 2, v[6:7]
	v_mov_b32_e32 v13, s31
	v_add_co_u32_e32 v6, vcc, s30, v6
	v_addc_co_u32_e32 v7, vcc, v13, v7, vcc
	v_add_co_u32_e32 v6, vcc, v6, v3
	v_addc_co_u32_e32 v7, vcc, v7, v4, vcc
	;; [unrolled: 2-line block ×3, first 2 shown]
	global_load_dword v13, v[6:7], off
	v_add_co_u32_e32 v6, vcc, -1, v24
	v_addc_co_u32_e32 v7, vcc, -1, v25, vcc
	v_mul_lo_u32 v17, v7, s6
	v_mul_lo_u32 v18, v6, s7
	v_mad_u64_u32 v[6:7], s[0:1], v6, s6, 0
	v_add3_u32 v7, v7, v18, v17
	v_lshlrev_b64 v[6:7], 2, v[6:7]
	v_mov_b32_e32 v17, s31
	v_add_co_u32_e32 v6, vcc, s30, v6
	v_addc_co_u32_e32 v7, vcc, v17, v7, vcc
	v_add_co_u32_e32 v3, vcc, v6, v3
	v_addc_co_u32_e32 v4, vcc, v7, v4, vcc
	v_add_co_u32_e32 v3, vcc, s2, v3
	v_addc_co_u32_e32 v4, vcc, v4, v11, vcc
	global_load_dword v3, v[3:4], off
	v_sub_f32_e32 v4, v12, v14
	s_waitcnt vmcnt(0)
	v_sub_f32_e32 v3, v13, v3
	v_mul_f32_e32 v3, v4, v3
	v_mul_f32_e32 v3, s9, v3
	v_fmac_f32_e32 v3, s8, v5
	v_fmac_f32_e32 v3, s10, v0
	v_sub_f32_e32 v0, v9, v3
	v_div_scale_f32 v2, s[0:1], v1, v1, v0
	v_rcp_f32_e32 v3, v2
	v_fma_f32 v4, -v2, v3, 1.0
	v_fmac_f32_e32 v3, v4, v3
	v_div_scale_f32 v4, vcc, v0, v1, v0
	v_mul_f32_e32 v5, v4, v3
	v_fma_f32 v6, -v2, v5, v4
	v_fmac_f32_e32 v5, v6, v3
	v_fma_f32 v2, -v2, v5, v4
	v_div_fmas_f32 v2, v2, v3, v5
	v_div_fixup_f32 v0, v2, v1, v0
	global_store_dword v[15:16], v0, off
.LBB1_4:
	s_endpgm
	.section	.rodata,"a",@progbits
	.p2align	6, 0x0
	.amdhsa_kernel _Z20target_pml_3d_kernelxxxiiixxxxxxxxxffffffffffffffffPKfPfS0_S1_S0_
		.amdhsa_group_segment_fixed_size 16384
		.amdhsa_private_segment_fixed_size 0
		.amdhsa_kernarg_size 472
		.amdhsa_user_sgpr_count 6
		.amdhsa_user_sgpr_private_segment_buffer 1
		.amdhsa_user_sgpr_dispatch_ptr 0
		.amdhsa_user_sgpr_queue_ptr 0
		.amdhsa_user_sgpr_kernarg_segment_ptr 1
		.amdhsa_user_sgpr_dispatch_id 0
		.amdhsa_user_sgpr_flat_scratch_init 0
		.amdhsa_user_sgpr_private_segment_size 0
		.amdhsa_uses_dynamic_stack 0
		.amdhsa_system_sgpr_private_segment_wavefront_offset 0
		.amdhsa_system_sgpr_workgroup_id_x 1
		.amdhsa_system_sgpr_workgroup_id_y 1
		.amdhsa_system_sgpr_workgroup_id_z 1
		.amdhsa_system_sgpr_workgroup_info 0
		.amdhsa_system_vgpr_workitem_id 2
		.amdhsa_next_free_vgpr 35
		.amdhsa_next_free_sgpr 61
		.amdhsa_reserve_vcc 1
		.amdhsa_reserve_flat_scratch 0
		.amdhsa_float_round_mode_32 0
		.amdhsa_float_round_mode_16_64 0
		.amdhsa_float_denorm_mode_32 3
		.amdhsa_float_denorm_mode_16_64 3
		.amdhsa_dx10_clamp 1
		.amdhsa_ieee_mode 1
		.amdhsa_fp16_overflow 0
		.amdhsa_exception_fp_ieee_invalid_op 0
		.amdhsa_exception_fp_denorm_src 0
		.amdhsa_exception_fp_ieee_div_zero 0
		.amdhsa_exception_fp_ieee_overflow 0
		.amdhsa_exception_fp_ieee_underflow 0
		.amdhsa_exception_fp_ieee_inexact 0
		.amdhsa_exception_int_div_zero 0
	.end_amdhsa_kernel
	.text
.Lfunc_end1:
	.size	_Z20target_pml_3d_kernelxxxiiixxxxxxxxxffffffffffffffffPKfPfS0_S1_S0_, .Lfunc_end1-_Z20target_pml_3d_kernelxxxiiixxxxxxxxxffffffffffffffffPKfPfS0_S1_S0_
                                        ; -- End function
	.set _Z20target_pml_3d_kernelxxxiiixxxxxxxxxffffffffffffffffPKfPfS0_S1_S0_.num_vgpr, 35
	.set _Z20target_pml_3d_kernelxxxiiixxxxxxxxxffffffffffffffffPKfPfS0_S1_S0_.num_agpr, 0
	.set _Z20target_pml_3d_kernelxxxiiixxxxxxxxxffffffffffffffffPKfPfS0_S1_S0_.numbered_sgpr, 38
	.set _Z20target_pml_3d_kernelxxxiiixxxxxxxxxffffffffffffffffPKfPfS0_S1_S0_.num_named_barrier, 0
	.set _Z20target_pml_3d_kernelxxxiiixxxxxxxxxffffffffffffffffPKfPfS0_S1_S0_.private_seg_size, 0
	.set _Z20target_pml_3d_kernelxxxiiixxxxxxxxxffffffffffffffffPKfPfS0_S1_S0_.uses_vcc, 1
	.set _Z20target_pml_3d_kernelxxxiiixxxxxxxxxffffffffffffffffPKfPfS0_S1_S0_.uses_flat_scratch, 0
	.set _Z20target_pml_3d_kernelxxxiiixxxxxxxxxffffffffffffffffPKfPfS0_S1_S0_.has_dyn_sized_stack, 0
	.set _Z20target_pml_3d_kernelxxxiiixxxxxxxxxffffffffffffffffPKfPfS0_S1_S0_.has_recursion, 0
	.set _Z20target_pml_3d_kernelxxxiiixxxxxxxxxffffffffffffffffPKfPfS0_S1_S0_.has_indirect_call, 0
	.section	.AMDGPU.csdata,"",@progbits
; Kernel info:
; codeLenInByte = 1828
; TotalNumSgprs: 42
; NumVgprs: 35
; ScratchSize: 0
; MemoryBound: 0
; FloatMode: 240
; IeeeMode: 1
; LDSByteSize: 16384 bytes/workgroup (compile time only)
; SGPRBlocks: 8
; VGPRBlocks: 8
; NumSGPRsForWavesPerEU: 65
; NumVGPRsForWavesPerEU: 35
; Occupancy: 7
; WaveLimiterHint : 0
; COMPUTE_PGM_RSRC2:SCRATCH_EN: 0
; COMPUTE_PGM_RSRC2:USER_SGPR: 6
; COMPUTE_PGM_RSRC2:TRAP_HANDLER: 0
; COMPUTE_PGM_RSRC2:TGID_X_EN: 1
; COMPUTE_PGM_RSRC2:TGID_Y_EN: 1
; COMPUTE_PGM_RSRC2:TGID_Z_EN: 1
; COMPUTE_PGM_RSRC2:TIDIG_COMP_CNT: 2
	.text
	.protected	_Z24kernel_add_source_kernelPfxf ; -- Begin function _Z24kernel_add_source_kernelPfxf
	.globl	_Z24kernel_add_source_kernelPfxf
	.p2align	8
	.type	_Z24kernel_add_source_kernelPfxf,@function
_Z24kernel_add_source_kernelPfxf:       ; @_Z24kernel_add_source_kernelPfxf
; %bb.0:
	s_load_dwordx4 s[0:3], s[4:5], 0x0
	s_load_dword s6, s[4:5], 0x10
	v_mov_b32_e32 v0, 0
	s_waitcnt lgkmcnt(0)
	s_lshl_b64 s[2:3], s[2:3], 2
	s_add_u32 s0, s0, s2
	s_addc_u32 s1, s1, s3
	s_load_dword s2, s[0:1], 0x0
	s_waitcnt lgkmcnt(0)
	v_mov_b32_e32 v1, s2
	v_add_f32_e32 v1, s6, v1
	global_store_dword v0, v1, s[0:1]
	s_endpgm
	.section	.rodata,"a",@progbits
	.p2align	6, 0x0
	.amdhsa_kernel _Z24kernel_add_source_kernelPfxf
		.amdhsa_group_segment_fixed_size 0
		.amdhsa_private_segment_fixed_size 0
		.amdhsa_kernarg_size 20
		.amdhsa_user_sgpr_count 6
		.amdhsa_user_sgpr_private_segment_buffer 1
		.amdhsa_user_sgpr_dispatch_ptr 0
		.amdhsa_user_sgpr_queue_ptr 0
		.amdhsa_user_sgpr_kernarg_segment_ptr 1
		.amdhsa_user_sgpr_dispatch_id 0
		.amdhsa_user_sgpr_flat_scratch_init 0
		.amdhsa_user_sgpr_private_segment_size 0
		.amdhsa_uses_dynamic_stack 0
		.amdhsa_system_sgpr_private_segment_wavefront_offset 0
		.amdhsa_system_sgpr_workgroup_id_x 1
		.amdhsa_system_sgpr_workgroup_id_y 0
		.amdhsa_system_sgpr_workgroup_id_z 0
		.amdhsa_system_sgpr_workgroup_info 0
		.amdhsa_system_vgpr_workitem_id 0
		.amdhsa_next_free_vgpr 2
		.amdhsa_next_free_sgpr 7
		.amdhsa_reserve_vcc 0
		.amdhsa_reserve_flat_scratch 0
		.amdhsa_float_round_mode_32 0
		.amdhsa_float_round_mode_16_64 0
		.amdhsa_float_denorm_mode_32 3
		.amdhsa_float_denorm_mode_16_64 3
		.amdhsa_dx10_clamp 1
		.amdhsa_ieee_mode 1
		.amdhsa_fp16_overflow 0
		.amdhsa_exception_fp_ieee_invalid_op 0
		.amdhsa_exception_fp_denorm_src 0
		.amdhsa_exception_fp_ieee_div_zero 0
		.amdhsa_exception_fp_ieee_overflow 0
		.amdhsa_exception_fp_ieee_underflow 0
		.amdhsa_exception_fp_ieee_inexact 0
		.amdhsa_exception_int_div_zero 0
	.end_amdhsa_kernel
	.text
.Lfunc_end2:
	.size	_Z24kernel_add_source_kernelPfxf, .Lfunc_end2-_Z24kernel_add_source_kernelPfxf
                                        ; -- End function
	.set _Z24kernel_add_source_kernelPfxf.num_vgpr, 2
	.set _Z24kernel_add_source_kernelPfxf.num_agpr, 0
	.set _Z24kernel_add_source_kernelPfxf.numbered_sgpr, 7
	.set _Z24kernel_add_source_kernelPfxf.num_named_barrier, 0
	.set _Z24kernel_add_source_kernelPfxf.private_seg_size, 0
	.set _Z24kernel_add_source_kernelPfxf.uses_vcc, 0
	.set _Z24kernel_add_source_kernelPfxf.uses_flat_scratch, 0
	.set _Z24kernel_add_source_kernelPfxf.has_dyn_sized_stack, 0
	.set _Z24kernel_add_source_kernelPfxf.has_recursion, 0
	.set _Z24kernel_add_source_kernelPfxf.has_indirect_call, 0
	.section	.AMDGPU.csdata,"",@progbits
; Kernel info:
; codeLenInByte = 68
; TotalNumSgprs: 11
; NumVgprs: 2
; ScratchSize: 0
; MemoryBound: 0
; FloatMode: 240
; IeeeMode: 1
; LDSByteSize: 0 bytes/workgroup (compile time only)
; SGPRBlocks: 1
; VGPRBlocks: 0
; NumSGPRsForWavesPerEU: 11
; NumVGPRsForWavesPerEU: 2
; Occupancy: 10
; WaveLimiterHint : 0
; COMPUTE_PGM_RSRC2:SCRATCH_EN: 0
; COMPUTE_PGM_RSRC2:USER_SGPR: 6
; COMPUTE_PGM_RSRC2:TRAP_HANDLER: 0
; COMPUTE_PGM_RSRC2:TGID_X_EN: 1
; COMPUTE_PGM_RSRC2:TGID_Y_EN: 0
; COMPUTE_PGM_RSRC2:TGID_Z_EN: 0
; COMPUTE_PGM_RSRC2:TIDIG_COMP_CNT: 0
	.section	.AMDGPU.gpr_maximums,"",@progbits
	.set amdgpu.max_num_vgpr, 0
	.set amdgpu.max_num_agpr, 0
	.set amdgpu.max_num_sgpr, 0
	.section	.AMDGPU.csdata,"",@progbits
	.type	__hip_cuid_c0510f7a5e670a30,@object ; @__hip_cuid_c0510f7a5e670a30
	.section	.bss,"aw",@nobits
	.globl	__hip_cuid_c0510f7a5e670a30
__hip_cuid_c0510f7a5e670a30:
	.byte	0                               ; 0x0
	.size	__hip_cuid_c0510f7a5e670a30, 1

	.ident	"AMD clang version 22.0.0git (https://github.com/RadeonOpenCompute/llvm-project roc-7.2.4 26084 f58b06dce1f9c15707c5f808fd002e18c2accf7e)"
	.section	".note.GNU-stack","",@progbits
	.addrsig
	.addrsig_sym __hip_cuid_c0510f7a5e670a30
	.amdgpu_metadata
---
amdhsa.kernels:
  - .args:
      - .offset:         0
        .size:           8
        .value_kind:     by_value
      - .offset:         8
        .size:           8
        .value_kind:     by_value
      - .offset:         16
        .size:           8
        .value_kind:     by_value
      - .offset:         24
        .size:           4
        .value_kind:     by_value
      - .offset:         28
        .size:           4
        .value_kind:     by_value
      - .offset:         32
        .size:           4
        .value_kind:     by_value
      - .offset:         40
        .size:           8
        .value_kind:     by_value
      - .offset:         48
        .size:           8
        .value_kind:     by_value
      - .offset:         56
        .size:           8
        .value_kind:     by_value
      - .offset:         64
        .size:           8
        .value_kind:     by_value
      - .offset:         72
        .size:           8
        .value_kind:     by_value
      - .offset:         80
        .size:           8
        .value_kind:     by_value
      - .offset:         88
        .size:           8
        .value_kind:     by_value
      - .offset:         96
        .size:           8
        .value_kind:     by_value
      - .offset:         104
        .size:           8
        .value_kind:     by_value
      - .offset:         112
        .size:           4
        .value_kind:     by_value
      - .offset:         116
        .size:           4
        .value_kind:     by_value
      - .offset:         120
        .size:           4
        .value_kind:     by_value
      - .offset:         124
        .size:           4
        .value_kind:     by_value
      - .offset:         128
        .size:           4
        .value_kind:     by_value
      - .offset:         132
        .size:           4
        .value_kind:     by_value
      - .offset:         136
        .size:           4
        .value_kind:     by_value
      - .offset:         140
        .size:           4
        .value_kind:     by_value
      - .offset:         144
        .size:           4
        .value_kind:     by_value
      - .offset:         148
        .size:           4
        .value_kind:     by_value
      - .offset:         152
        .size:           4
        .value_kind:     by_value
      - .offset:         156
        .size:           4
        .value_kind:     by_value
      - .offset:         160
        .size:           4
        .value_kind:     by_value
      - .offset:         164
        .size:           4
        .value_kind:     by_value
      - .offset:         168
        .size:           4
        .value_kind:     by_value
      - .offset:         172
        .size:           4
        .value_kind:     by_value
      - .actual_access:  read_only
        .address_space:  global
        .offset:         176
        .size:           8
        .value_kind:     global_buffer
      - .address_space:  global
        .offset:         184
        .size:           8
        .value_kind:     global_buffer
      - .actual_access:  read_only
        .address_space:  global
        .offset:         192
        .size:           8
        .value_kind:     global_buffer
      - .actual_access:  read_only
        .address_space:  global
        .offset:         200
        .size:           8
        .value_kind:     global_buffer
      - .actual_access:  read_only
        .address_space:  global
        .offset:         208
        .size:           8
        .value_kind:     global_buffer
      - .offset:         216
        .size:           4
        .value_kind:     hidden_block_count_x
      - .offset:         220
        .size:           4
        .value_kind:     hidden_block_count_y
      - .offset:         224
        .size:           4
        .value_kind:     hidden_block_count_z
      - .offset:         228
        .size:           2
        .value_kind:     hidden_group_size_x
      - .offset:         230
        .size:           2
        .value_kind:     hidden_group_size_y
      - .offset:         232
        .size:           2
        .value_kind:     hidden_group_size_z
      - .offset:         234
        .size:           2
        .value_kind:     hidden_remainder_x
      - .offset:         236
        .size:           2
        .value_kind:     hidden_remainder_y
      - .offset:         238
        .size:           2
        .value_kind:     hidden_remainder_z
      - .offset:         256
        .size:           8
        .value_kind:     hidden_global_offset_x
      - .offset:         264
        .size:           8
        .value_kind:     hidden_global_offset_y
      - .offset:         272
        .size:           8
        .value_kind:     hidden_global_offset_z
      - .offset:         280
        .size:           2
        .value_kind:     hidden_grid_dims
    .group_segment_fixed_size: 16384
    .kernarg_segment_align: 8
    .kernarg_segment_size: 472
    .language:       OpenCL C
    .language_version:
      - 2
      - 0
    .max_flat_workgroup_size: 1024
    .name:           _Z22target_inner_3d_kernelxxxiiixxxxxxxxxffffffffffffffffPKfPfS0_S0_S0_
    .private_segment_fixed_size: 0
    .sgpr_count:     34
    .sgpr_spill_count: 0
    .symbol:         _Z22target_inner_3d_kernelxxxiiixxxxxxxxxffffffffffffffffPKfPfS0_S0_S0_.kd
    .uniform_work_group_size: 1
    .uses_dynamic_stack: false
    .vgpr_count:     27
    .vgpr_spill_count: 0
    .wavefront_size: 64
  - .args:
      - .offset:         0
        .size:           8
        .value_kind:     by_value
      - .offset:         8
        .size:           8
        .value_kind:     by_value
      - .offset:         16
        .size:           8
        .value_kind:     by_value
      - .offset:         24
        .size:           4
        .value_kind:     by_value
      - .offset:         28
        .size:           4
        .value_kind:     by_value
      - .offset:         32
        .size:           4
        .value_kind:     by_value
      - .offset:         40
        .size:           8
        .value_kind:     by_value
      - .offset:         48
        .size:           8
        .value_kind:     by_value
      - .offset:         56
        .size:           8
        .value_kind:     by_value
      - .offset:         64
        .size:           8
        .value_kind:     by_value
      - .offset:         72
        .size:           8
        .value_kind:     by_value
      - .offset:         80
        .size:           8
        .value_kind:     by_value
      - .offset:         88
        .size:           8
        .value_kind:     by_value
      - .offset:         96
        .size:           8
        .value_kind:     by_value
      - .offset:         104
        .size:           8
        .value_kind:     by_value
      - .offset:         112
        .size:           4
        .value_kind:     by_value
      - .offset:         116
        .size:           4
        .value_kind:     by_value
      - .offset:         120
        .size:           4
        .value_kind:     by_value
      - .offset:         124
        .size:           4
        .value_kind:     by_value
      - .offset:         128
        .size:           4
        .value_kind:     by_value
      - .offset:         132
        .size:           4
        .value_kind:     by_value
      - .offset:         136
        .size:           4
        .value_kind:     by_value
      - .offset:         140
        .size:           4
        .value_kind:     by_value
      - .offset:         144
        .size:           4
        .value_kind:     by_value
      - .offset:         148
        .size:           4
        .value_kind:     by_value
      - .offset:         152
        .size:           4
        .value_kind:     by_value
      - .offset:         156
        .size:           4
        .value_kind:     by_value
      - .offset:         160
        .size:           4
        .value_kind:     by_value
      - .offset:         164
        .size:           4
        .value_kind:     by_value
      - .offset:         168
        .size:           4
        .value_kind:     by_value
      - .offset:         172
        .size:           4
        .value_kind:     by_value
      - .actual_access:  read_only
        .address_space:  global
        .offset:         176
        .size:           8
        .value_kind:     global_buffer
      - .address_space:  global
        .offset:         184
        .size:           8
        .value_kind:     global_buffer
      - .actual_access:  read_only
        .address_space:  global
        .offset:         192
        .size:           8
        .value_kind:     global_buffer
      - .address_space:  global
        .offset:         200
        .size:           8
        .value_kind:     global_buffer
      - .actual_access:  read_only
        .address_space:  global
        .offset:         208
        .size:           8
        .value_kind:     global_buffer
      - .offset:         216
        .size:           4
        .value_kind:     hidden_block_count_x
      - .offset:         220
        .size:           4
        .value_kind:     hidden_block_count_y
      - .offset:         224
        .size:           4
        .value_kind:     hidden_block_count_z
      - .offset:         228
        .size:           2
        .value_kind:     hidden_group_size_x
      - .offset:         230
        .size:           2
        .value_kind:     hidden_group_size_y
      - .offset:         232
        .size:           2
        .value_kind:     hidden_group_size_z
      - .offset:         234
        .size:           2
        .value_kind:     hidden_remainder_x
      - .offset:         236
        .size:           2
        .value_kind:     hidden_remainder_y
      - .offset:         238
        .size:           2
        .value_kind:     hidden_remainder_z
      - .offset:         256
        .size:           8
        .value_kind:     hidden_global_offset_x
      - .offset:         264
        .size:           8
        .value_kind:     hidden_global_offset_y
      - .offset:         272
        .size:           8
        .value_kind:     hidden_global_offset_z
      - .offset:         280
        .size:           2
        .value_kind:     hidden_grid_dims
    .group_segment_fixed_size: 16384
    .kernarg_segment_align: 8
    .kernarg_segment_size: 472
    .language:       OpenCL C
    .language_version:
      - 2
      - 0
    .max_flat_workgroup_size: 1024
    .name:           _Z20target_pml_3d_kernelxxxiiixxxxxxxxxffffffffffffffffPKfPfS0_S1_S0_
    .private_segment_fixed_size: 0
    .sgpr_count:     42
    .sgpr_spill_count: 0
    .symbol:         _Z20target_pml_3d_kernelxxxiiixxxxxxxxxffffffffffffffffPKfPfS0_S1_S0_.kd
    .uniform_work_group_size: 1
    .uses_dynamic_stack: false
    .vgpr_count:     35
    .vgpr_spill_count: 0
    .wavefront_size: 64
  - .args:
      - .address_space:  global
        .offset:         0
        .size:           8
        .value_kind:     global_buffer
      - .offset:         8
        .size:           8
        .value_kind:     by_value
      - .offset:         16
        .size:           4
        .value_kind:     by_value
    .group_segment_fixed_size: 0
    .kernarg_segment_align: 8
    .kernarg_segment_size: 20
    .language:       OpenCL C
    .language_version:
      - 2
      - 0
    .max_flat_workgroup_size: 1024
    .name:           _Z24kernel_add_source_kernelPfxf
    .private_segment_fixed_size: 0
    .sgpr_count:     11
    .sgpr_spill_count: 0
    .symbol:         _Z24kernel_add_source_kernelPfxf.kd
    .uniform_work_group_size: 1
    .uses_dynamic_stack: false
    .vgpr_count:     2
    .vgpr_spill_count: 0
    .wavefront_size: 64
amdhsa.target:   amdgcn-amd-amdhsa--gfx906
amdhsa.version:
  - 1
  - 2
...

	.end_amdgpu_metadata
